;; amdgpu-corpus repo=ROCm/rocFFT kind=compiled arch=gfx1030 opt=O3
	.text
	.amdgcn_target "amdgcn-amd-amdhsa--gfx1030"
	.amdhsa_code_object_version 6
	.protected	fft_rtc_fwd_len1716_factors_13_2_6_11_wgs_156_tpt_156_dp_ip_CI_unitstride_sbrr_R2C_dirReg ; -- Begin function fft_rtc_fwd_len1716_factors_13_2_6_11_wgs_156_tpt_156_dp_ip_CI_unitstride_sbrr_R2C_dirReg
	.globl	fft_rtc_fwd_len1716_factors_13_2_6_11_wgs_156_tpt_156_dp_ip_CI_unitstride_sbrr_R2C_dirReg
	.p2align	8
	.type	fft_rtc_fwd_len1716_factors_13_2_6_11_wgs_156_tpt_156_dp_ip_CI_unitstride_sbrr_R2C_dirReg,@function
fft_rtc_fwd_len1716_factors_13_2_6_11_wgs_156_tpt_156_dp_ip_CI_unitstride_sbrr_R2C_dirReg: ; @fft_rtc_fwd_len1716_factors_13_2_6_11_wgs_156_tpt_156_dp_ip_CI_unitstride_sbrr_R2C_dirReg
; %bb.0:
	s_clause 0x2
	s_load_dwordx4 s[8:11], s[4:5], 0x0
	s_load_dwordx2 s[2:3], s[4:5], 0x50
	s_load_dwordx2 s[12:13], s[4:5], 0x18
	v_mul_u32_u24_e32 v1, 0x1a5, v0
	v_mov_b32_e32 v3, 0
	v_add_nc_u32_sdwa v5, s6, v1 dst_sel:DWORD dst_unused:UNUSED_PAD src0_sel:DWORD src1_sel:WORD_1
	v_mov_b32_e32 v1, 0
	v_mov_b32_e32 v6, v3
	v_mov_b32_e32 v2, 0
	s_waitcnt lgkmcnt(0)
	v_cmp_lt_u64_e64 s0, s[10:11], 2
	s_and_b32 vcc_lo, exec_lo, s0
	s_cbranch_vccnz .LBB0_8
; %bb.1:
	s_load_dwordx2 s[0:1], s[4:5], 0x10
	v_mov_b32_e32 v1, 0
	s_add_u32 s6, s12, 8
	v_mov_b32_e32 v2, 0
	s_addc_u32 s7, s13, 0
	s_mov_b64 s[16:17], 1
	s_waitcnt lgkmcnt(0)
	s_add_u32 s14, s0, 8
	s_addc_u32 s15, s1, 0
.LBB0_2:                                ; =>This Inner Loop Header: Depth=1
	s_load_dwordx2 s[18:19], s[14:15], 0x0
                                        ; implicit-def: $vgpr7_vgpr8
	s_mov_b32 s0, exec_lo
	s_waitcnt lgkmcnt(0)
	v_or_b32_e32 v4, s19, v6
	v_cmpx_ne_u64_e32 0, v[3:4]
	s_xor_b32 s1, exec_lo, s0
	s_cbranch_execz .LBB0_4
; %bb.3:                                ;   in Loop: Header=BB0_2 Depth=1
	v_cvt_f32_u32_e32 v4, s18
	v_cvt_f32_u32_e32 v7, s19
	s_sub_u32 s0, 0, s18
	s_subb_u32 s20, 0, s19
	v_fmac_f32_e32 v4, 0x4f800000, v7
	v_rcp_f32_e32 v4, v4
	v_mul_f32_e32 v4, 0x5f7ffffc, v4
	v_mul_f32_e32 v7, 0x2f800000, v4
	v_trunc_f32_e32 v7, v7
	v_fmac_f32_e32 v4, 0xcf800000, v7
	v_cvt_u32_f32_e32 v7, v7
	v_cvt_u32_f32_e32 v4, v4
	v_mul_lo_u32 v8, s0, v7
	v_mul_hi_u32 v9, s0, v4
	v_mul_lo_u32 v10, s20, v4
	v_add_nc_u32_e32 v8, v9, v8
	v_mul_lo_u32 v9, s0, v4
	v_add_nc_u32_e32 v8, v8, v10
	v_mul_hi_u32 v10, v4, v9
	v_mul_lo_u32 v11, v4, v8
	v_mul_hi_u32 v12, v4, v8
	v_mul_hi_u32 v13, v7, v9
	v_mul_lo_u32 v9, v7, v9
	v_mul_hi_u32 v14, v7, v8
	v_mul_lo_u32 v8, v7, v8
	v_add_co_u32 v10, vcc_lo, v10, v11
	v_add_co_ci_u32_e32 v11, vcc_lo, 0, v12, vcc_lo
	v_add_co_u32 v9, vcc_lo, v10, v9
	v_add_co_ci_u32_e32 v9, vcc_lo, v11, v13, vcc_lo
	v_add_co_ci_u32_e32 v10, vcc_lo, 0, v14, vcc_lo
	v_add_co_u32 v8, vcc_lo, v9, v8
	v_add_co_ci_u32_e32 v9, vcc_lo, 0, v10, vcc_lo
	v_add_co_u32 v4, vcc_lo, v4, v8
	v_add_co_ci_u32_e32 v7, vcc_lo, v7, v9, vcc_lo
	v_mul_hi_u32 v8, s0, v4
	v_mul_lo_u32 v10, s20, v4
	v_mul_lo_u32 v9, s0, v7
	v_add_nc_u32_e32 v8, v8, v9
	v_mul_lo_u32 v9, s0, v4
	v_add_nc_u32_e32 v8, v8, v10
	v_mul_hi_u32 v10, v4, v9
	v_mul_lo_u32 v11, v4, v8
	v_mul_hi_u32 v12, v4, v8
	v_mul_hi_u32 v13, v7, v9
	v_mul_lo_u32 v9, v7, v9
	v_mul_hi_u32 v14, v7, v8
	v_mul_lo_u32 v8, v7, v8
	v_add_co_u32 v10, vcc_lo, v10, v11
	v_add_co_ci_u32_e32 v11, vcc_lo, 0, v12, vcc_lo
	v_add_co_u32 v9, vcc_lo, v10, v9
	v_add_co_ci_u32_e32 v9, vcc_lo, v11, v13, vcc_lo
	v_add_co_ci_u32_e32 v10, vcc_lo, 0, v14, vcc_lo
	v_add_co_u32 v8, vcc_lo, v9, v8
	v_add_co_ci_u32_e32 v9, vcc_lo, 0, v10, vcc_lo
	v_add_co_u32 v4, vcc_lo, v4, v8
	v_add_co_ci_u32_e32 v11, vcc_lo, v7, v9, vcc_lo
	v_mul_hi_u32 v13, v5, v4
	v_mad_u64_u32 v[9:10], null, v6, v4, 0
	v_mad_u64_u32 v[7:8], null, v5, v11, 0
	;; [unrolled: 1-line block ×3, first 2 shown]
	v_add_co_u32 v4, vcc_lo, v13, v7
	v_add_co_ci_u32_e32 v7, vcc_lo, 0, v8, vcc_lo
	v_add_co_u32 v4, vcc_lo, v4, v9
	v_add_co_ci_u32_e32 v4, vcc_lo, v7, v10, vcc_lo
	v_add_co_ci_u32_e32 v7, vcc_lo, 0, v12, vcc_lo
	v_add_co_u32 v4, vcc_lo, v4, v11
	v_add_co_ci_u32_e32 v9, vcc_lo, 0, v7, vcc_lo
	v_mul_lo_u32 v10, s19, v4
	v_mad_u64_u32 v[7:8], null, s18, v4, 0
	v_mul_lo_u32 v11, s18, v9
	v_sub_co_u32 v7, vcc_lo, v5, v7
	v_add3_u32 v8, v8, v11, v10
	v_sub_nc_u32_e32 v10, v6, v8
	v_subrev_co_ci_u32_e64 v10, s0, s19, v10, vcc_lo
	v_add_co_u32 v11, s0, v4, 2
	v_add_co_ci_u32_e64 v12, s0, 0, v9, s0
	v_sub_co_u32 v13, s0, v7, s18
	v_sub_co_ci_u32_e32 v8, vcc_lo, v6, v8, vcc_lo
	v_subrev_co_ci_u32_e64 v10, s0, 0, v10, s0
	v_cmp_le_u32_e32 vcc_lo, s18, v13
	v_cmp_eq_u32_e64 s0, s19, v8
	v_cndmask_b32_e64 v13, 0, -1, vcc_lo
	v_cmp_le_u32_e32 vcc_lo, s19, v10
	v_cndmask_b32_e64 v14, 0, -1, vcc_lo
	v_cmp_le_u32_e32 vcc_lo, s18, v7
	;; [unrolled: 2-line block ×3, first 2 shown]
	v_cndmask_b32_e64 v15, 0, -1, vcc_lo
	v_cmp_eq_u32_e32 vcc_lo, s19, v10
	v_cndmask_b32_e64 v7, v15, v7, s0
	v_cndmask_b32_e32 v10, v14, v13, vcc_lo
	v_add_co_u32 v13, vcc_lo, v4, 1
	v_add_co_ci_u32_e32 v14, vcc_lo, 0, v9, vcc_lo
	v_cmp_ne_u32_e32 vcc_lo, 0, v10
	v_cndmask_b32_e32 v8, v14, v12, vcc_lo
	v_cndmask_b32_e32 v10, v13, v11, vcc_lo
	v_cmp_ne_u32_e32 vcc_lo, 0, v7
	v_cndmask_b32_e32 v8, v9, v8, vcc_lo
	v_cndmask_b32_e32 v7, v4, v10, vcc_lo
.LBB0_4:                                ;   in Loop: Header=BB0_2 Depth=1
	s_andn2_saveexec_b32 s0, s1
	s_cbranch_execz .LBB0_6
; %bb.5:                                ;   in Loop: Header=BB0_2 Depth=1
	v_cvt_f32_u32_e32 v4, s18
	s_sub_i32 s1, 0, s18
	v_rcp_iflag_f32_e32 v4, v4
	v_mul_f32_e32 v4, 0x4f7ffffe, v4
	v_cvt_u32_f32_e32 v4, v4
	v_mul_lo_u32 v7, s1, v4
	v_mul_hi_u32 v7, v4, v7
	v_add_nc_u32_e32 v4, v4, v7
	v_mul_hi_u32 v4, v5, v4
	v_mul_lo_u32 v7, v4, s18
	v_add_nc_u32_e32 v8, 1, v4
	v_sub_nc_u32_e32 v7, v5, v7
	v_subrev_nc_u32_e32 v9, s18, v7
	v_cmp_le_u32_e32 vcc_lo, s18, v7
	v_cndmask_b32_e32 v7, v7, v9, vcc_lo
	v_cndmask_b32_e32 v4, v4, v8, vcc_lo
	v_cmp_le_u32_e32 vcc_lo, s18, v7
	v_add_nc_u32_e32 v8, 1, v4
	v_cndmask_b32_e32 v7, v4, v8, vcc_lo
	v_mov_b32_e32 v8, v3
.LBB0_6:                                ;   in Loop: Header=BB0_2 Depth=1
	s_or_b32 exec_lo, exec_lo, s0
	s_load_dwordx2 s[0:1], s[6:7], 0x0
	v_mul_lo_u32 v4, v8, s18
	v_mul_lo_u32 v11, v7, s19
	v_mad_u64_u32 v[9:10], null, v7, s18, 0
	s_add_u32 s16, s16, 1
	s_addc_u32 s17, s17, 0
	s_add_u32 s6, s6, 8
	s_addc_u32 s7, s7, 0
	;; [unrolled: 2-line block ×3, first 2 shown]
	v_add3_u32 v4, v10, v11, v4
	v_sub_co_u32 v5, vcc_lo, v5, v9
	v_sub_co_ci_u32_e32 v4, vcc_lo, v6, v4, vcc_lo
	s_waitcnt lgkmcnt(0)
	v_mul_lo_u32 v6, s1, v5
	v_mul_lo_u32 v4, s0, v4
	v_mad_u64_u32 v[1:2], null, s0, v5, v[1:2]
	v_cmp_ge_u64_e64 s0, s[16:17], s[10:11]
	s_and_b32 vcc_lo, exec_lo, s0
	v_add3_u32 v2, v6, v2, v4
	s_cbranch_vccnz .LBB0_9
; %bb.7:                                ;   in Loop: Header=BB0_2 Depth=1
	v_mov_b32_e32 v5, v7
	v_mov_b32_e32 v6, v8
	s_branch .LBB0_2
.LBB0_8:
	v_mov_b32_e32 v8, v6
	v_mov_b32_e32 v7, v5
.LBB0_9:
	s_lshl_b64 s[0:1], s[10:11], 3
	v_mul_hi_u32 v3, 0x1a41a42, v0
	s_add_u32 s0, s12, s0
	s_addc_u32 s1, s13, s1
	s_load_dwordx2 s[0:1], s[0:1], 0x0
	s_load_dwordx2 s[4:5], s[4:5], 0x20
	v_mul_u32_u24_e32 v3, 0x9c, v3
	v_sub_nc_u32_e32 v60, v0, v3
	v_lshl_add_u32 v160, v60, 4, 0
	s_waitcnt lgkmcnt(0)
	v_mul_lo_u32 v4, s0, v8
	v_mul_lo_u32 v5, s1, v7
	v_mad_u64_u32 v[1:2], null, s0, v7, v[1:2]
	v_cmp_gt_u64_e32 vcc_lo, s[4:5], v[7:8]
	v_add3_u32 v2, v5, v2, v4
	v_lshlrev_b64 v[62:63], 4, v[1:2]
	s_and_saveexec_b32 s1, vcc_lo
	s_cbranch_execz .LBB0_11
; %bb.10:
	v_mov_b32_e32 v61, 0
	v_add_co_u32 v2, s0, s2, v62
	v_add_co_ci_u32_e64 v3, s0, s3, v63, s0
	v_lshlrev_b64 v[0:1], 4, v[60:61]
	v_add_co_u32 v24, s0, v2, v0
	v_add_co_ci_u32_e64 v25, s0, v3, v1, s0
	v_add_co_u32 v4, s0, 0x800, v24
	v_add_co_ci_u32_e64 v5, s0, 0, v25, s0
	;; [unrolled: 2-line block ×11, first 2 shown]
	s_clause 0xa
	global_load_dwordx4 v[0:3], v[24:25], off
	global_load_dwordx4 v[4:7], v[4:5], off offset:448
	global_load_dwordx4 v[8:11], v[8:9], off offset:896
	;; [unrolled: 1-line block ×10, first 2 shown]
	s_waitcnt vmcnt(10)
	ds_write_b128 v160, v[0:3]
	s_waitcnt vmcnt(9)
	ds_write_b128 v160, v[4:7] offset:2496
	s_waitcnt vmcnt(8)
	ds_write_b128 v160, v[8:11] offset:4992
	;; [unrolled: 2-line block ×10, first 2 shown]
.LBB0_11:
	s_or_b32 exec_lo, exec_lo, s1
	s_waitcnt lgkmcnt(0)
	s_barrier
	buffer_gl0_inv
	ds_read_b128 v[8:11], v160 offset:25344
	ds_read_b128 v[40:43], v160 offset:2112
	ds_read_b128 v[12:15], v160 offset:23232
	ds_read_b128 v[36:39], v160 offset:4224
	ds_read_b128 v[20:23], v160
	s_mov_b32 s6, 0x42a4c3d2
	s_mov_b32 s10, 0x66966769
	;; [unrolled: 1-line block ×4, first 2 shown]
	ds_read_b128 v[32:35], v160 offset:6336
	ds_read_b128 v[56:59], v160 offset:8448
	;; [unrolled: 1-line block ×4, first 2 shown]
	s_mov_b32 s4, 0x1ea71119
	s_mov_b32 s18, 0x2ef20147
	;; [unrolled: 1-line block ×8, first 2 shown]
	s_waitcnt lgkmcnt(7)
	v_add_f64 v[114:115], v[42:43], -v[10:11]
	v_add_f64 v[86:87], v[40:41], -v[8:9]
	s_waitcnt lgkmcnt(5)
	v_add_f64 v[66:67], v[38:39], -v[14:15]
	v_add_f64 v[64:65], v[36:37], -v[12:13]
	v_add_f64 v[140:141], v[40:41], v[8:9]
	v_add_f64 v[158:159], v[42:43], v[10:11]
	;; [unrolled: 1-line block ×4, first 2 shown]
	s_mov_b32 s16, 0xb2365da1
	s_mov_b32 s14, 0x93053d00
	s_waitcnt lgkmcnt(1)
	v_add_f64 v[88:89], v[34:35], -v[18:19]
	v_add_f64 v[74:75], v[32:33], -v[16:17]
	s_mov_b32 s17, 0xbfd6b1d8
	s_mov_b32 s15, 0xbfef11f4
	;; [unrolled: 1-line block ×4, first 2 shown]
	v_add_f64 v[82:83], v[32:33], v[16:17]
	v_add_f64 v[122:123], v[34:35], v[18:19]
	s_waitcnt lgkmcnt(0)
	v_add_f64 v[90:91], v[58:59], -v[26:27]
	v_add_f64 v[68:69], v[56:57], -v[24:25]
	ds_read_b128 v[48:51], v160 offset:10560
	ds_read_b128 v[28:31], v160 offset:16896
	s_mov_b32 s20, 0x24c2f84
	v_mul_f64 v[150:151], v[114:115], s[6:7]
	v_mul_f64 v[152:153], v[86:87], s[6:7]
	;; [unrolled: 1-line block ×8, first 2 shown]
	s_mov_b32 s36, 0x4267c47c
	s_mov_b32 s21, 0x3fe5384d
	v_mul_f64 v[102:103], v[88:89], s[12:13]
	v_mul_f64 v[118:119], v[74:75], s[12:13]
	;; [unrolled: 1-line block ×4, first 2 shown]
	s_mov_b32 s37, 0x3fddbe06
	v_add_f64 v[76:77], v[56:57], v[24:25]
	v_add_f64 v[126:127], v[58:59], v[26:27]
	ds_read_b128 v[52:55], v160 offset:12672
	ds_read_b128 v[44:47], v160 offset:14784
	s_waitcnt lgkmcnt(2)
	v_add_f64 v[94:95], v[50:51], -v[30:31]
	v_add_f64 v[70:71], v[48:49], -v[28:29]
	v_mul_f64 v[98:99], v[90:91], s[20:21]
	v_mul_f64 v[106:107], v[68:69], s[20:21]
	v_fma_f64 v[0:1], v[140:141], s[4:5], v[150:151]
	v_fma_f64 v[2:3], v[158:159], s[4:5], -v[152:153]
	v_fma_f64 v[4:5], v[140:141], s[22:23], v[154:155]
	v_fma_f64 v[6:7], v[158:159], s[22:23], -v[156:157]
	;; [unrolled: 2-line block ×4, first 2 shown]
	v_mul_f64 v[142:143], v[90:91], s[36:37]
	v_mul_f64 v[148:149], v[68:69], s[36:37]
	v_fma_f64 v[100:101], v[82:83], s[14:15], v[102:103]
	v_fma_f64 v[108:109], v[122:123], s[14:15], -v[118:119]
	v_fma_f64 v[112:113], v[82:83], s[16:17], v[138:139]
	v_fma_f64 v[124:125], v[122:123], s[16:17], -v[146:147]
	s_mov_b32 s26, 0xd0032e0c
	s_mov_b32 s34, 0xe00740e9
	;; [unrolled: 1-line block ×6, first 2 shown]
	v_add_f64 v[132:133], v[50:51], v[30:31]
	v_mul_f64 v[104:105], v[94:95], s[30:31]
	v_add_f64 v[0:1], v[20:21], v[0:1]
	v_add_f64 v[2:3], v[22:23], v[2:3]
	;; [unrolled: 1-line block ×4, first 2 shown]
	v_mul_f64 v[110:111], v[70:71], s[30:31]
	v_mul_f64 v[120:121], v[94:95], s[6:7]
	v_mul_f64 v[128:129], v[70:71], s[6:7]
	v_fma_f64 v[161:162], v[76:77], s[26:27], v[98:99]
	v_fma_f64 v[163:164], v[126:127], s[26:27], -v[106:107]
	v_fma_f64 v[165:166], v[76:77], s[34:35], v[142:143]
	v_fma_f64 v[167:168], v[126:127], s[34:35], -v[148:149]
	s_mov_b32 s29, 0xbfe5384d
	s_mov_b32 s28, s20
	s_waitcnt lgkmcnt(0)
	v_add_f64 v[134:135], v[54:55], v[46:47]
	s_mov_b32 s33, exec_lo
	s_barrier
	buffer_gl0_inv
	v_add_f64 v[0:1], v[72:73], v[0:1]
	v_add_f64 v[2:3], v[78:79], v[2:3]
	;; [unrolled: 1-line block ×5, first 2 shown]
	v_add_f64 v[96:97], v[54:55], -v[46:47]
	v_add_f64 v[72:73], v[52:53], -v[44:45]
	v_add_f64 v[84:85], v[52:53], v[44:45]
	v_fma_f64 v[171:172], v[132:133], s[22:23], -v[110:111]
	v_fma_f64 v[175:176], v[132:133], s[4:5], -v[128:129]
	v_add_f64 v[0:1], v[100:101], v[0:1]
	v_add_f64 v[2:3], v[108:109], v[2:3]
	;; [unrolled: 1-line block ×4, first 2 shown]
	v_fma_f64 v[169:170], v[78:79], s[22:23], v[104:105]
	v_mul_f64 v[100:101], v[96:97], s[36:37]
	v_mul_f64 v[108:109], v[72:73], s[36:37]
	;; [unrolled: 1-line block ×4, first 2 shown]
	v_fma_f64 v[173:174], v[78:79], s[4:5], v[120:121]
	v_add_f64 v[0:1], v[161:162], v[0:1]
	v_add_f64 v[2:3], v[163:164], v[2:3]
	;; [unrolled: 1-line block ×4, first 2 shown]
	v_fma_f64 v[161:162], v[84:85], s[34:35], v[100:101]
	v_fma_f64 v[163:164], v[134:135], s[34:35], -v[108:109]
	v_fma_f64 v[165:166], v[84:85], s[26:27], v[112:113]
	v_fma_f64 v[167:168], v[134:135], s[26:27], -v[124:125]
	v_add_f64 v[0:1], v[169:170], v[0:1]
	v_add_f64 v[2:3], v[171:172], v[2:3]
	;; [unrolled: 1-line block ×8, first 2 shown]
	v_cmpx_gt_u32_e32 0x84, v60
	s_cbranch_execz .LBB0_13
; %bb.12:
	v_add_f64 v[42:43], v[22:23], v[42:43]
	v_add_f64 v[40:41], v[20:21], v[40:41]
	v_mul_f64 v[161:162], v[158:159], s[14:15]
	s_mov_b32 s1, 0x3fcea1e5
	s_mov_b32 s0, s12
	v_mul_f64 v[163:164], v[114:115], s[12:13]
	v_mul_f64 v[165:166], v[130:131], s[34:35]
	s_mov_b32 s41, 0xbfddbe06
	s_mov_b32 s40, s36
	v_mul_f64 v[167:168], v[66:67], s[36:37]
	v_mul_f64 v[175:176], v[158:159], s[22:23]
	;; [unrolled: 1-line block ×13, first 2 shown]
	v_add_f64 v[38:39], v[42:43], v[38:39]
	v_add_f64 v[36:37], v[40:41], v[36:37]
	v_fma_f64 v[40:41], v[86:87], s[0:1], v[161:162]
	v_fma_f64 v[161:162], v[86:87], s[12:13], v[161:162]
	v_mul_f64 v[158:159], v[158:159], s[34:35]
	v_fma_f64 v[197:198], v[140:141], s[14:15], v[163:164]
	v_fma_f64 v[215:216], v[64:65], s[40:41], v[165:166]
	v_mul_f64 v[195:196], v[122:123], s[4:5]
	v_mul_f64 v[199:200], v[66:67], s[30:31]
	v_fma_f64 v[165:166], v[64:65], s[36:37], v[165:166]
	v_add_f64 v[156:157], v[156:157], v[175:176]
	v_fma_f64 v[219:220], v[86:87], s[20:21], v[185:186]
	v_fma_f64 v[185:186], v[86:87], s[28:29], v[185:186]
	v_fma_f64 v[217:218], v[74:75], s[20:21], v[181:182]
	v_fma_f64 v[221:222], v[140:141], s[26:27], v[187:188]
	v_fma_f64 v[187:188], v[140:141], s[26:27], -v[187:188]
	s_mov_b32 s39, 0x3fea55e2
	s_mov_b32 s38, s6
	v_add_f64 v[152:153], v[152:153], v[171:172]
	v_fma_f64 v[171:172], v[140:141], s[16:17], v[193:194]
	v_mul_f64 v[201:202], v[88:89], s[6:7]
	v_mul_f64 v[203:204], v[130:131], s[26:27]
	v_add_f64 v[34:35], v[38:39], v[34:35]
	v_add_f64 v[32:33], v[36:37], v[32:33]
	;; [unrolled: 1-line block ×3, first 2 shown]
	v_mul_f64 v[38:39], v[114:115], s[40:41]
	v_fma_f64 v[114:115], v[140:141], s[14:15], -v[163:164]
	v_fma_f64 v[163:164], v[80:81], s[34:35], v[167:168]
	v_add_f64 v[175:176], v[20:21], v[197:198]
	v_fma_f64 v[167:168], v[80:81], s[34:35], -v[167:168]
	v_add_f64 v[161:162], v[22:23], v[161:162]
	v_mul_f64 v[213:214], v[90:91], s[38:39]
	v_fma_f64 v[197:198], v[82:83], s[26:27], v[183:184]
	v_add_f64 v[219:220], v[22:23], v[219:220]
	v_add_f64 v[185:186], v[22:23], v[185:186]
	v_add_f64 v[154:155], v[173:174], -v[154:155]
	v_fma_f64 v[173:174], v[86:87], s[24:25], v[189:190]
	v_add_f64 v[150:151], v[169:170], -v[150:151]
	v_fma_f64 v[169:170], v[86:87], s[36:37], v[158:159]
	v_fma_f64 v[181:182], v[74:75], s[28:29], v[181:182]
	v_fma_f64 v[183:184], v[82:83], s[26:27], -v[183:184]
	v_add_f64 v[187:188], v[20:21], v[187:188]
	v_mul_f64 v[207:208], v[126:127], s[14:15]
	v_mul_f64 v[177:178], v[132:133], s[16:17]
	v_add_f64 v[34:35], v[34:35], v[58:59]
	v_add_f64 v[32:33], v[32:33], v[56:57]
	v_add_f64 v[36:37], v[215:216], v[36:37]
	v_fma_f64 v[56:57], v[86:87], s[18:19], v[189:190]
	v_add_f64 v[114:115], v[20:21], v[114:115]
	v_fma_f64 v[58:59], v[140:141], s[16:17], -v[193:194]
	v_add_f64 v[163:164], v[163:164], v[175:176]
	v_fma_f64 v[175:176], v[64:65], s[10:11], v[191:192]
	v_fma_f64 v[191:192], v[64:65], s[30:31], v[191:192]
	;; [unrolled: 1-line block ×5, first 2 shown]
	v_fma_f64 v[193:194], v[80:81], s[22:23], -v[199:200]
	v_add_f64 v[161:162], v[165:166], v[161:162]
	v_fma_f64 v[165:166], v[74:75], s[6:7], v[195:196]
	v_fma_f64 v[223:224], v[140:141], s[34:35], v[38:39]
	v_fma_f64 v[38:39], v[140:141], s[34:35], -v[38:39]
	v_mul_f64 v[42:43], v[94:95], s[18:19]
	v_mul_f64 v[209:210], v[122:123], s[34:35]
	;; [unrolled: 1-line block ×3, first 2 shown]
	v_fma_f64 v[179:180], v[68:69], s[38:39], v[179:180]
	v_fma_f64 v[140:141], v[76:77], s[4:5], -v[213:214]
	v_add_f64 v[34:35], v[34:35], v[50:51]
	v_add_f64 v[32:33], v[32:33], v[48:49]
	;; [unrolled: 1-line block ×3, first 2 shown]
	v_fma_f64 v[48:49], v[74:75], s[38:39], v[195:196]
	v_add_f64 v[195:196], v[20:21], v[221:222]
	v_add_f64 v[114:115], v[167:168], v[114:115]
	v_fma_f64 v[50:51], v[82:83], s[4:5], v[201:202]
	v_add_f64 v[175:176], v[175:176], v[219:220]
	v_fma_f64 v[201:202], v[82:83], s[4:5], -v[201:202]
	v_add_f64 v[163:164], v[197:198], v[163:164]
	v_fma_f64 v[197:198], v[64:65], s[20:21], v[203:204]
	v_add_f64 v[56:57], v[22:23], v[56:57]
	v_add_f64 v[58:59], v[20:21], v[58:59]
	;; [unrolled: 1-line block ×9, first 2 shown]
	v_fma_f64 v[215:216], v[78:79], s[16:17], v[42:43]
	v_fma_f64 v[217:218], v[64:65], s[28:29], v[203:204]
	v_add_f64 v[34:35], v[34:35], v[54:55]
	v_add_f64 v[54:55], v[20:21], v[171:172]
	;; [unrolled: 1-line block ×12, first 2 shown]
	v_fma_f64 v[175:176], v[68:69], s[0:1], v[207:208]
	v_fma_f64 v[203:204], v[68:69], s[12:13], v[207:208]
	v_add_f64 v[48:49], v[179:180], v[161:162]
	v_fma_f64 v[161:162], v[76:77], s[14:15], v[40:41]
	v_fma_f64 v[42:43], v[78:79], s[16:17], -v[42:43]
	v_add_f64 v[56:57], v[197:198], v[56:57]
	v_fma_f64 v[181:182], v[74:75], s[36:37], v[209:210]
	v_mul_f64 v[205:206], v[66:67], s[20:21]
	v_fma_f64 v[40:41], v[76:77], s[14:15], -v[40:41]
	v_fma_f64 v[199:200], v[70:71], s[24:25], v[177:178]
	v_add_f64 v[34:35], v[34:35], v[46:47]
	v_fma_f64 v[46:47], v[70:71], s[18:19], v[177:178]
	v_add_f64 v[165:166], v[165:166], v[171:172]
	v_add_f64 v[32:33], v[32:33], v[44:45]
	v_mul_f64 v[44:45], v[132:133], s[34:35]
	v_mul_f64 v[171:172], v[94:95], s[36:37]
	v_add_f64 v[50:51], v[50:51], v[158:159]
	v_add_f64 v[114:115], v[140:141], v[114:115]
	;; [unrolled: 1-line block ×3, first 2 shown]
	v_mul_f64 v[173:174], v[126:127], s[22:23]
	v_mul_f64 v[158:159], v[130:131], s[14:15]
	;; [unrolled: 1-line block ×3, first 2 shown]
	v_add_f64 v[52:53], v[217:218], v[52:53]
	v_add_f64 v[20:21], v[203:204], v[20:21]
	v_fma_f64 v[177:178], v[74:75], s[40:41], v[209:210]
	v_mul_f64 v[211:212], v[88:89], s[36:37]
	v_mul_f64 v[88:89], v[88:89], s[10:11]
	;; [unrolled: 1-line block ×3, first 2 shown]
	v_add_f64 v[56:57], v[181:182], v[56:57]
	v_mul_f64 v[181:182], v[134:135], s[22:23]
	v_fma_f64 v[167:168], v[80:81], s[26:27], v[205:206]
	v_add_f64 v[36:37], v[199:200], v[36:37]
	v_add_f64 v[30:31], v[34:35], v[30:31]
	;; [unrolled: 1-line block ×4, first 2 shown]
	v_mul_f64 v[175:176], v[130:131], s[16:17]
	v_mul_f64 v[130:131], v[130:131], s[4:5]
	v_fma_f64 v[183:184], v[70:71], s[40:41], v[44:45]
	v_mul_f64 v[48:49], v[122:123], s[16:17]
	v_add_f64 v[50:51], v[161:162], v[50:51]
	v_mul_f64 v[161:162], v[80:81], s[16:17]
	v_add_f64 v[42:43], v[42:43], v[114:115]
	v_fma_f64 v[114:115], v[68:69], s[30:31], v[173:174]
	v_fma_f64 v[173:174], v[68:69], s[10:11], v[173:174]
	v_add_f64 v[144:145], v[144:145], v[158:159]
	v_add_f64 v[40:41], v[40:41], v[140:141]
	v_mul_f64 v[140:141], v[80:81], s[14:15]
	v_fma_f64 v[158:159], v[78:79], s[34:35], v[171:172]
	v_fma_f64 v[44:45], v[70:71], s[36:37], v[44:45]
	v_fma_f64 v[171:172], v[78:79], s[34:35], -v[171:172]
	v_add_f64 v[28:29], v[32:33], v[28:29]
	v_mul_f64 v[34:35], v[122:123], s[22:23]
	v_add_f64 v[52:53], v[177:178], v[52:53]
	v_mul_f64 v[177:178], v[82:83], s[14:15]
	v_add_f64 v[54:55], v[167:168], v[54:55]
	v_fma_f64 v[167:168], v[82:83], s[34:35], v[211:212]
	v_mul_f64 v[185:186], v[126:127], s[34:35]
	v_add_f64 v[116:117], v[116:117], v[175:176]
	v_fma_f64 v[32:33], v[64:65], s[6:7], v[130:131]
	v_add_f64 v[183:184], v[183:184], v[20:21]
	v_fma_f64 v[20:21], v[80:81], s[26:27], -v[205:206]
	v_add_f64 v[48:49], v[146:147], v[48:49]
	v_mul_f64 v[146:147], v[122:123], s[14:15]
	v_add_f64 v[92:93], v[161:162], -v[92:93]
	v_fma_f64 v[161:162], v[80:81], s[4:5], -v[66:67]
	v_add_f64 v[56:57], v[173:174], v[56:57]
	v_fma_f64 v[173:174], v[72:73], s[10:11], v[181:182]
	v_add_f64 v[144:145], v[144:145], v[156:157]
	v_mul_f64 v[156:157], v[82:83], s[16:17]
	v_add_f64 v[136:137], v[140:141], -v[136:137]
	v_fma_f64 v[64:65], v[64:65], s[38:39], v[130:131]
	v_fma_f64 v[66:67], v[80:81], s[4:5], v[66:67]
	v_add_f64 v[44:45], v[44:45], v[165:166]
	v_mul_f64 v[165:166], v[76:77], s[26:27]
	v_add_f64 v[171:172], v[171:172], v[40:41]
	v_mul_f64 v[40:41], v[126:127], s[26:27]
	v_mul_f64 v[126:127], v[126:127], s[16:17]
	;; [unrolled: 1-line block ×3, first 2 shown]
	v_add_f64 v[102:103], v[177:178], -v[102:103]
	v_add_f64 v[116:117], v[116:117], v[152:153]
	v_add_f64 v[22:23], v[32:33], v[22:23]
	v_fma_f64 v[32:33], v[74:75], s[10:11], v[34:35]
	v_add_f64 v[58:59], v[20:21], v[58:59]
	v_add_f64 v[54:55], v[167:168], v[54:55]
	v_fma_f64 v[167:168], v[76:77], s[22:23], v[179:180]
	v_add_f64 v[92:93], v[92:93], v[150:151]
	v_fma_f64 v[150:151], v[82:83], s[22:23], -v[88:89]
	v_add_f64 v[38:39], v[161:162], v[38:39]
	v_add_f64 v[20:21], v[173:174], v[36:37]
	;; [unrolled: 1-line block ×4, first 2 shown]
	v_mul_f64 v[158:159], v[76:77], s[34:35]
	v_add_f64 v[138:139], v[156:157], -v[138:139]
	v_add_f64 v[136:137], v[136:137], v[154:155]
	v_fma_f64 v[146:147], v[72:73], s[30:31], v[181:182]
	v_fma_f64 v[181:182], v[82:83], s[34:35], -v[211:212]
	v_fma_f64 v[34:35], v[74:75], s[30:31], v[34:35]
	v_add_f64 v[64:65], v[64:65], v[169:170]
	v_fma_f64 v[82:83], v[82:83], s[22:23], v[88:89]
	v_add_f64 v[66:67], v[66:67], v[86:87]
	v_add_f64 v[40:41], v[106:107], v[40:41]
	v_add_f64 v[86:87], v[165:166], -v[98:99]
	v_mul_f64 v[98:99], v[132:133], s[26:27]
	v_fma_f64 v[106:107], v[68:69], s[18:19], v[126:127]
	v_add_f64 v[22:23], v[32:33], v[22:23]
	v_add_f64 v[26:27], v[30:31], v[26:27]
	;; [unrolled: 1-line block ×3, first 2 shown]
	v_mul_f64 v[140:141], v[78:79], s[22:23]
	v_mul_f64 v[118:119], v[132:133], s[14:15]
	;; [unrolled: 1-line block ×4, first 2 shown]
	v_add_f64 v[36:37], v[36:37], v[116:117]
	v_fma_f64 v[32:33], v[76:77], s[16:17], -v[90:91]
	v_add_f64 v[28:29], v[150:151], v[38:39]
	v_add_f64 v[52:53], v[114:115], v[52:53]
	v_mul_f64 v[114:115], v[132:133], s[22:23]
	v_add_f64 v[30:31], v[102:103], v[92:93]
	v_add_f64 v[54:55], v[167:168], v[54:55]
	v_mul_f64 v[167:168], v[78:79], s[4:5]
	v_mul_f64 v[187:188], v[132:133], s[4:5]
	v_add_f64 v[148:149], v[148:149], v[185:186]
	v_add_f64 v[48:49], v[48:49], v[144:145]
	v_add_f64 v[142:143], v[158:159], -v[142:143]
	v_add_f64 v[38:39], v[138:139], v[136:137]
	v_fma_f64 v[179:180], v[76:77], s[22:23], -v[179:180]
	v_add_f64 v[58:59], v[181:182], v[58:59]
	v_fma_f64 v[221:222], v[76:77], s[4:5], v[213:214]
	v_fma_f64 v[68:69], v[68:69], s[24:25], v[126:127]
	v_add_f64 v[34:35], v[34:35], v[64:65]
	v_fma_f64 v[64:65], v[76:77], s[16:17], v[90:91]
	v_add_f64 v[66:67], v[82:83], v[66:67]
	v_mul_f64 v[185:186], v[96:97], s[30:31]
	v_mul_f64 v[156:157], v[96:97], s[18:19]
	;; [unrolled: 1-line block ×4, first 2 shown]
	v_fma_f64 v[96:97], v[70:71], s[28:29], v[98:99]
	v_add_f64 v[22:23], v[106:107], v[22:23]
	v_add_f64 v[18:19], v[26:27], v[18:19]
	;; [unrolled: 1-line block ×3, first 2 shown]
	v_mul_f64 v[161:162], v[134:135], s[4:5]
	v_fma_f64 v[74:75], v[70:71], s[12:13], v[118:119]
	v_fma_f64 v[118:119], v[70:71], s[0:1], v[118:119]
	v_add_f64 v[36:37], v[40:41], v[36:37]
	v_add_f64 v[40:41], v[140:141], -v[104:105]
	v_mul_f64 v[82:83], v[134:135], s[14:15]
	v_fma_f64 v[104:105], v[78:79], s[26:27], -v[94:95]
	v_add_f64 v[24:25], v[32:33], v[28:29]
	v_mul_f64 v[144:145], v[84:85], s[34:35]
	v_mul_f64 v[175:176], v[134:135], s[34:35]
	v_add_f64 v[76:77], v[110:111], v[114:115]
	v_add_f64 v[26:27], v[86:87], v[30:31]
	v_mul_f64 v[154:155], v[84:85], s[26:27]
	v_mul_f64 v[122:123], v[134:135], s[26:27]
	v_add_f64 v[102:103], v[128:129], v[187:188]
	v_add_f64 v[48:49], v[148:149], v[48:49]
	v_add_f64 v[116:117], v[167:168], -v[120:121]
	v_add_f64 v[28:29], v[142:143], v[38:39]
	v_fma_f64 v[92:93], v[78:79], s[14:15], -v[152:153]
	v_add_f64 v[30:31], v[179:180], v[58:59]
	v_mul_f64 v[158:159], v[134:135], s[16:17]
	v_add_f64 v[163:164], v[221:222], v[163:164]
	v_fma_f64 v[88:89], v[78:79], s[14:15], v[152:153]
	v_fma_f64 v[70:71], v[70:71], s[20:21], v[98:99]
	v_add_f64 v[34:35], v[68:69], v[34:35]
	v_fma_f64 v[68:69], v[78:79], s[26:27], v[94:95]
	v_add_f64 v[64:65], v[64:65], v[66:67]
	v_add_f64 v[22:23], v[96:97], v[22:23]
	;; [unrolled: 1-line block ×4, first 2 shown]
	v_fma_f64 v[32:33], v[72:73], s[38:39], v[161:162]
	v_add_f64 v[38:39], v[118:119], v[56:57]
	v_fma_f64 v[86:87], v[72:73], s[12:13], v[82:83]
	v_fma_f64 v[94:95], v[84:85], s[14:15], -v[90:91]
	v_add_f64 v[98:99], v[104:105], v[24:25]
	v_add_f64 v[78:79], v[108:109], v[175:176]
	;; [unrolled: 1-line block ×3, first 2 shown]
	v_add_f64 v[76:77], v[144:145], -v[100:101]
	v_add_f64 v[26:27], v[40:41], v[26:27]
	v_add_f64 v[58:59], v[124:125], v[122:123]
	;; [unrolled: 1-line block ×3, first 2 shown]
	v_add_f64 v[66:67], v[154:155], -v[112:113]
	v_add_f64 v[100:101], v[116:117], v[28:29]
	v_fma_f64 v[56:57], v[84:85], s[4:5], -v[169:170]
	v_add_f64 v[92:93], v[92:93], v[30:31]
	v_fma_f64 v[80:81], v[72:73], s[24:25], v[158:159]
	v_fma_f64 v[177:178], v[84:85], s[16:17], v[156:157]
	;; [unrolled: 1-line block ×3, first 2 shown]
	v_fma_f64 v[156:157], v[84:85], s[16:17], -v[156:157]
	v_fma_f64 v[173:174], v[84:85], s[22:23], -v[185:186]
	v_add_f64 v[163:164], v[215:216], v[163:164]
	v_fma_f64 v[130:131], v[84:85], s[22:23], v[185:186]
	v_fma_f64 v[102:103], v[72:73], s[6:7], v[161:162]
	v_add_f64 v[52:53], v[74:75], v[52:53]
	v_fma_f64 v[74:75], v[84:85], s[4:5], v[169:170]
	v_add_f64 v[54:55], v[88:89], v[54:55]
	;; [unrolled: 2-line block ×4, first 2 shown]
	v_add_f64 v[10:11], v[96:97], v[10:11]
	v_add_f64 v[8:9], v[16:17], v[8:9]
	;; [unrolled: 1-line block ×20, first 2 shown]
	v_mad_u32_u24 v16, 0xc0, v60, v160
	v_add_f64 v[50:51], v[82:83], v[64:65]
	ds_write_b128 v16, v[8:11]
	ds_write_b128 v16, v[38:41] offset:16
	ds_write_b128 v16, v[34:37] offset:32
	;; [unrolled: 1-line block ×12, first 2 shown]
.LBB0_13:
	s_or_b32 exec_lo, exec_lo, s33
	s_waitcnt lgkmcnt(0)
	s_barrier
	buffer_gl0_inv
	ds_read_b128 v[16:19], v160
	ds_read_b128 v[24:27], v160 offset:2496
	ds_read_b128 v[8:11], v160 offset:16224
	;; [unrolled: 1-line block ×9, first 2 shown]
	v_cmp_gt_u32_e64 s0, 0x4e, v60
	s_and_saveexec_b32 s1, s0
	s_cbranch_execz .LBB0_15
; %bb.14:
	ds_read_b128 v[0:3], v160 offset:12480
	ds_read_b128 v[4:7], v160 offset:26208
.LBB0_15:
	s_or_b32 exec_lo, exec_lo, s1
	v_and_b32_e32 v48, 0xff, v60
	v_add_nc_u32_e32 v49, 0x9c, v60
	v_mov_b32_e32 v55, 0x4ec5
	v_add_nc_u32_e32 v53, 0x138, v60
	v_add_nc_u32_e32 v52, 0x1d4, v60
	v_mul_lo_u16 v50, 0x4f, v48
	v_add_nc_u32_e32 v51, 0x270, v60
	v_mul_u32_u24_sdwa v56, v49, v55 dst_sel:DWORD dst_unused:UNUSED_PAD src0_sel:WORD_0 src1_sel:DWORD
	v_add_nc_u32_e32 v48, 0x30c, v60
	v_mul_u32_u24_sdwa v57, v53, v55 dst_sel:DWORD dst_unused:UNUSED_PAD src0_sel:WORD_0 src1_sel:DWORD
	v_lshrrev_b16 v59, 10, v50
	v_mul_u32_u24_sdwa v58, v52, v55 dst_sel:DWORD dst_unused:UNUSED_PAD src0_sel:WORD_0 src1_sel:DWORD
	v_lshrrev_b32_e32 v98, 18, v56
	v_mul_u32_u24_sdwa v61, v51, v55 dst_sel:DWORD dst_unused:UNUSED_PAD src0_sel:WORD_0 src1_sel:DWORD
	v_mul_u32_u24_sdwa v55, v48, v55 dst_sel:DWORD dst_unused:UNUSED_PAD src0_sel:WORD_0 src1_sel:DWORD
	v_mul_lo_u16 v56, v59, 13
	v_lshrrev_b32_e32 v99, 18, v57
	v_mov_b32_e32 v54, 4
	v_lshrrev_b32_e32 v100, 18, v58
	v_mul_lo_u16 v57, v98, 13
	v_sub_nc_u16 v56, v60, v56
	v_lshrrev_b32_e32 v61, 18, v61
	v_mul_lo_u16 v58, v99, 13
	v_lshrrev_b32_e32 v55, 18, v55
	v_sub_nc_u16 v57, v49, v57
	v_lshlrev_b32_sdwa v101, v54, v56 dst_sel:DWORD dst_unused:UNUSED_PAD src0_sel:DWORD src1_sel:BYTE_0
	v_mul_lo_u16 v56, v100, 13
	v_mul_lo_u16 v64, v61, 13
	v_sub_nc_u16 v58, v53, v58
	v_mul_lo_u16 v65, v55, 13
	v_lshlrev_b32_sdwa v102, v54, v57 dst_sel:DWORD dst_unused:UNUSED_PAD src0_sel:DWORD src1_sel:WORD_0
	v_sub_nc_u16 v56, v52, v56
	v_sub_nc_u16 v57, v51, v64
	v_lshlrev_b32_sdwa v103, v54, v58 dst_sel:DWORD dst_unused:UNUSED_PAD src0_sel:DWORD src1_sel:WORD_0
	v_sub_nc_u16 v58, v48, v65
	s_clause 0x1
	global_load_dwordx4 v[64:67], v101, s[8:9]
	global_load_dwordx4 v[68:71], v102, s[8:9]
	v_lshlrev_b32_sdwa v104, v54, v56 dst_sel:DWORD dst_unused:UNUSED_PAD src0_sel:DWORD src1_sel:WORD_0
	v_lshlrev_b32_sdwa v105, v54, v57 dst_sel:DWORD dst_unused:UNUSED_PAD src0_sel:DWORD src1_sel:WORD_0
	;; [unrolled: 1-line block ×3, first 2 shown]
	s_clause 0x3
	global_load_dwordx4 v[72:75], v103, s[8:9]
	global_load_dwordx4 v[76:79], v104, s[8:9]
	;; [unrolled: 1-line block ×4, first 2 shown]
	s_waitcnt vmcnt(0) lgkmcnt(0)
	s_barrier
	buffer_gl0_inv
	v_mul_f64 v[57:58], v[46:47], v[66:67]
	v_mul_f64 v[66:67], v[44:45], v[66:67]
	;; [unrolled: 1-line block ×12, first 2 shown]
	v_fma_f64 v[44:45], v[44:45], v[64:65], -v[57:58]
	v_fma_f64 v[46:47], v[46:47], v[64:65], v[66:67]
	v_fma_f64 v[8:9], v[8:9], v[68:69], -v[88:89]
	v_fma_f64 v[10:11], v[10:11], v[68:69], v[70:71]
	;; [unrolled: 2-line block ×6, first 2 shown]
	v_add_f64 v[40:41], v[16:17], -v[44:45]
	v_add_f64 v[42:43], v[18:19], -v[46:47]
	;; [unrolled: 1-line block ×12, first 2 shown]
	v_mov_b32_e32 v4, 0x1a0
	v_mul_u32_u24_e32 v58, 0x1a0, v98
	v_mul_u32_u24_sdwa v57, v59, v4 dst_sel:DWORD dst_unused:UNUSED_PAD src0_sel:WORD_0 src1_sel:DWORD
	v_fma_f64 v[68:69], v[16:17], 2.0, -v[40:41]
	v_fma_f64 v[70:71], v[18:19], 2.0, -v[42:43]
	;; [unrolled: 1-line block ×12, first 2 shown]
	v_mul_u32_u24_e32 v28, 0x1a0, v99
	v_mul_u32_u24_e32 v29, 0x1a0, v100
	;; [unrolled: 1-line block ×3, first 2 shown]
	v_add3_u32 v31, 0, v57, v101
	v_add3_u32 v36, 0, v58, v102
	;; [unrolled: 1-line block ×5, first 2 shown]
	ds_write_b128 v31, v[40:43] offset:208
	ds_write_b128 v31, v[68:71]
	ds_write_b128 v36, v[24:27]
	ds_write_b128 v36, v[44:47] offset:208
	ds_write_b128 v28, v[32:35]
	ds_write_b128 v28, v[64:67] offset:208
	;; [unrolled: 2-line block ×4, first 2 shown]
	s_and_saveexec_b32 s1, s0
	s_cbranch_execz .LBB0_17
; %bb.16:
	v_mul_lo_u16 v24, v55, 26
	v_lshlrev_b32_sdwa v24, v54, v24 dst_sel:DWORD dst_unused:UNUSED_PAD src0_sel:DWORD src1_sel:WORD_0
	v_add3_u32 v24, 0, v56, v24
	ds_write_b128 v24, v[0:3]
	ds_write_b128 v24, v[20:23] offset:208
.LBB0_17:
	s_or_b32 exec_lo, exec_lo, s1
	s_waitcnt lgkmcnt(0)
	s_barrier
	buffer_gl0_inv
	ds_read_b128 v[24:27], v160
	ds_read_b128 v[36:39], v160 offset:4576
	ds_read_b128 v[28:31], v160 offset:9152
	;; [unrolled: 1-line block ×5, first 2 shown]
	v_cmp_gt_u32_e64 s1, 0x82, v60
	s_and_saveexec_b32 s4, s1
	s_cbranch_execz .LBB0_19
; %bb.18:
	ds_read_b128 v[4:7], v160 offset:2496
	ds_read_b128 v[8:11], v160 offset:7072
	ds_read_b128 v[16:19], v160 offset:11648
	ds_read_b128 v[12:15], v160 offset:16224
	ds_read_b128 v[0:3], v160 offset:20800
	ds_read_b128 v[20:23], v160 offset:25376
.LBB0_19:
	s_or_b32 exec_lo, exec_lo, s4
	v_lshrrev_b16 v61, 11, v50
	v_mov_b32_e32 v50, 5
	s_mov_b32 s4, 0xe8584caa
	s_mov_b32 s5, 0x3febb67a
	;; [unrolled: 1-line block ×3, first 2 shown]
	v_mul_lo_u16 v54, v61, 26
	s_mov_b32 s6, s4
	v_sub_nc_u16 v84, v60, v54
	v_mul_u32_u24_sdwa v54, v84, v50 dst_sel:DWORD dst_unused:UNUSED_PAD src0_sel:BYTE_0 src1_sel:DWORD
	v_lshlrev_b32_e32 v58, 4, v54
	s_clause 0x4
	global_load_dwordx4 v[54:57], v58, s[8:9] offset:240
	global_load_dwordx4 v[64:67], v58, s[8:9] offset:272
	global_load_dwordx4 v[68:71], v58, s[8:9] offset:208
	global_load_dwordx4 v[72:75], v58, s[8:9] offset:224
	global_load_dwordx4 v[76:79], v58, s[8:9] offset:256
	s_waitcnt vmcnt(0) lgkmcnt(0)
	s_barrier
	buffer_gl0_inv
	v_mul_f64 v[58:59], v[42:43], v[56:57]
	v_mul_f64 v[56:57], v[40:41], v[56:57]
	;; [unrolled: 1-line block ×6, first 2 shown]
	v_fma_f64 v[40:41], v[40:41], v[54:55], -v[58:59]
	v_fma_f64 v[42:43], v[42:43], v[54:55], v[56:57]
	v_fma_f64 v[46:47], v[46:47], v[64:65], v[80:81]
	v_fma_f64 v[44:45], v[44:45], v[64:65], -v[66:67]
	v_mul_f64 v[54:55], v[30:31], v[74:75]
	v_mul_f64 v[56:57], v[28:29], v[74:75]
	;; [unrolled: 1-line block ×4, first 2 shown]
	v_fma_f64 v[36:37], v[36:37], v[68:69], -v[82:83]
	v_fma_f64 v[38:39], v[38:39], v[68:69], v[70:71]
	v_add_f64 v[66:67], v[42:43], v[46:47]
	v_add_f64 v[68:69], v[40:41], v[44:45]
	v_fma_f64 v[28:29], v[28:29], v[72:73], -v[54:55]
	v_fma_f64 v[30:31], v[30:31], v[72:73], v[56:57]
	v_fma_f64 v[32:33], v[32:33], v[76:77], -v[58:59]
	v_fma_f64 v[34:35], v[34:35], v[76:77], v[64:65]
	v_add_f64 v[54:55], v[42:43], -v[46:47]
	v_add_f64 v[56:57], v[40:41], -v[44:45]
	v_fma_f64 v[58:59], v[66:67], -0.5, v[38:39]
	v_fma_f64 v[64:65], v[68:69], -0.5, v[36:37]
	v_add_f64 v[36:37], v[36:37], v[40:41]
	v_add_f64 v[38:39], v[38:39], v[42:43]
	;; [unrolled: 1-line block ×4, first 2 shown]
	v_fma_f64 v[70:71], v[56:57], s[6:7], v[58:59]
	v_fma_f64 v[72:73], v[54:55], s[6:7], v[64:65]
	;; [unrolled: 1-line block ×4, first 2 shown]
	v_add_f64 v[58:59], v[24:25], v[28:29]
	v_add_f64 v[64:65], v[30:31], -v[34:35]
	v_add_f64 v[30:31], v[26:27], v[30:31]
	v_fma_f64 v[24:25], v[66:67], -0.5, v[24:25]
	v_add_f64 v[28:29], v[28:29], -v[32:33]
	v_fma_f64 v[26:27], v[68:69], -0.5, v[26:27]
	v_mul_f64 v[40:41], v[70:71], s[4:5]
	v_mul_f64 v[42:43], v[72:73], -0.5
	v_mul_f64 v[66:67], v[54:55], s[6:7]
	v_mul_f64 v[68:69], v[56:57], -0.5
	v_add_f64 v[32:33], v[58:59], v[32:33]
	v_add_f64 v[34:35], v[30:31], v[34:35]
	;; [unrolled: 1-line block ×4, first 2 shown]
	v_fma_f64 v[44:45], v[64:65], s[4:5], v[24:25]
	v_fma_f64 v[58:59], v[28:29], s[6:7], v[26:27]
	;; [unrolled: 1-line block ×4, first 2 shown]
	v_mov_b32_e32 v24, 4
	v_fma_f64 v[54:55], v[54:55], 0.5, v[40:41]
	v_fma_f64 v[56:57], v[56:57], s[4:5], v[42:43]
	v_fma_f64 v[66:67], v[70:71], 0.5, v[66:67]
	v_fma_f64 v[68:69], v[72:73], s[6:7], v[68:69]
	v_add_f64 v[25:26], v[32:33], v[30:31]
	v_add_f64 v[27:28], v[34:35], v[36:37]
	v_add_f64 v[29:30], v[32:33], -v[30:31]
	v_add_f64 v[31:32], v[34:35], -v[36:37]
	v_add_f64 v[33:34], v[44:45], v[54:55]
	v_add_f64 v[37:38], v[46:47], v[56:57]
	;; [unrolled: 1-line block ×4, first 2 shown]
	v_add_f64 v[41:42], v[44:45], -v[54:55]
	v_add_f64 v[43:44], v[58:59], -v[66:67]
	;; [unrolled: 1-line block ×4, first 2 shown]
	v_mov_b32_e32 v45, 0x9c0
	v_lshlrev_b32_sdwa v46, v24, v84 dst_sel:DWORD dst_unused:UNUSED_PAD src0_sel:DWORD src1_sel:BYTE_0
	v_mul_u32_u24_sdwa v45, v61, v45 dst_sel:DWORD dst_unused:UNUSED_PAD src0_sel:WORD_0 src1_sel:DWORD
	v_add3_u32 v45, 0, v45, v46
	ds_write_b128 v45, v[25:28]
	ds_write_b128 v45, v[29:32] offset:1248
	ds_write_b128 v45, v[33:36] offset:416
	;; [unrolled: 1-line block ×5, first 2 shown]
	s_and_saveexec_b32 s10, s1
	s_cbranch_execz .LBB0_21
; %bb.20:
	v_mov_b32_e32 v25, 0x4ec5
	v_mul_u32_u24_sdwa v25, v49, v25 dst_sel:DWORD dst_unused:UNUSED_PAD src0_sel:WORD_0 src1_sel:DWORD
	v_lshrrev_b32_e32 v47, 19, v25
	v_mul_lo_u16 v25, v47, 26
	v_sub_nc_u16 v58, v49, v25
	v_mul_u32_u24_sdwa v25, v58, v50 dst_sel:DWORD dst_unused:UNUSED_PAD src0_sel:WORD_0 src1_sel:DWORD
	v_lshlrev_b32_e32 v41, 4, v25
	s_clause 0x4
	global_load_dwordx4 v[25:28], v41, s[8:9] offset:240
	global_load_dwordx4 v[29:32], v41, s[8:9] offset:272
	;; [unrolled: 1-line block ×5, first 2 shown]
	s_waitcnt vmcnt(4)
	v_mul_f64 v[45:46], v[14:15], v[27:28]
	v_mul_f64 v[27:28], v[12:13], v[27:28]
	s_waitcnt vmcnt(3)
	v_mul_f64 v[54:55], v[20:21], v[31:32]
	v_mul_f64 v[31:32], v[22:23], v[31:32]
	;; [unrolled: 3-line block ×3, first 2 shown]
	v_fma_f64 v[12:13], v[12:13], v[25:26], -v[45:46]
	v_fma_f64 v[14:15], v[14:15], v[25:26], v[27:28]
	v_fma_f64 v[22:23], v[22:23], v[29:30], v[54:55]
	v_fma_f64 v[20:21], v[20:21], v[29:30], -v[31:32]
	s_waitcnt vmcnt(1)
	v_mul_f64 v[25:26], v[18:19], v[39:40]
	v_mul_f64 v[27:28], v[16:17], v[39:40]
	s_waitcnt vmcnt(0)
	v_mul_f64 v[29:30], v[0:1], v[43:44]
	v_fma_f64 v[8:9], v[8:9], v[33:34], -v[56:57]
	v_fma_f64 v[10:11], v[10:11], v[33:34], v[35:36]
	v_mul_f64 v[35:36], v[2:3], v[43:44]
	v_add_f64 v[31:32], v[14:15], v[22:23]
	v_add_f64 v[33:34], v[12:13], v[20:21]
	v_fma_f64 v[16:17], v[16:17], v[37:38], -v[25:26]
	v_fma_f64 v[18:19], v[18:19], v[37:38], v[27:28]
	v_fma_f64 v[2:3], v[2:3], v[41:42], v[29:30]
	v_add_f64 v[25:26], v[14:15], -v[22:23]
	v_add_f64 v[27:28], v[12:13], -v[20:21]
	v_fma_f64 v[0:1], v[0:1], v[41:42], -v[35:36]
	v_fma_f64 v[29:30], v[31:32], -0.5, v[10:11]
	v_fma_f64 v[31:32], v[33:34], -0.5, v[8:9]
	v_add_f64 v[10:11], v[10:11], v[14:15]
	v_add_f64 v[14:15], v[4:5], v[16:17]
	v_add_f64 v[33:34], v[18:19], v[2:3]
	v_add_f64 v[8:9], v[8:9], v[12:13]
	v_add_f64 v[12:13], v[18:19], -v[2:3]
	v_add_f64 v[39:40], v[16:17], v[0:1]
	v_fma_f64 v[35:36], v[27:28], s[4:5], v[29:30]
	v_fma_f64 v[37:38], v[25:26], s[4:5], v[31:32]
	;; [unrolled: 1-line block ×4, first 2 shown]
	v_add_f64 v[31:32], v[6:7], v[18:19]
	v_add_f64 v[29:30], v[16:17], -v[0:1]
	v_fma_f64 v[6:7], v[33:34], -0.5, v[6:7]
	v_fma_f64 v[4:5], v[39:40], -0.5, v[4:5]
	v_add_f64 v[10:11], v[10:11], v[22:23]
	v_add_f64 v[14:15], v[14:15], v[0:1]
	;; [unrolled: 1-line block ×3, first 2 shown]
	v_mul_f64 v[16:17], v[35:36], -0.5
	v_mul_f64 v[18:19], v[37:38], s[6:7]
	v_mul_f64 v[33:34], v[27:28], s[4:5]
	v_mul_f64 v[39:40], v[25:26], -0.5
	v_add_f64 v[31:32], v[31:32], v[2:3]
	v_fma_f64 v[20:21], v[29:30], s[4:5], v[6:7]
	v_fma_f64 v[22:23], v[29:30], s[6:7], v[6:7]
	v_add_f64 v[0:1], v[14:15], -v[8:9]
	v_fma_f64 v[16:17], v[25:26], s[6:7], v[16:17]
	v_fma_f64 v[25:26], v[27:28], 0.5, v[18:19]
	v_fma_f64 v[27:28], v[12:13], s[6:7], v[4:5]
	v_fma_f64 v[12:13], v[12:13], s[4:5], v[4:5]
	v_fma_f64 v[29:30], v[37:38], 0.5, v[33:34]
	v_fma_f64 v[33:34], v[35:36], s[4:5], v[39:40]
	v_add_f64 v[6:7], v[31:32], v[10:11]
	v_add_f64 v[4:5], v[14:15], v[8:9]
	v_add_f64 v[2:3], v[31:32], -v[10:11]
	v_add_f64 v[10:11], v[20:21], -v[16:17]
	;; [unrolled: 1-line block ×3, first 2 shown]
	v_add_f64 v[18:19], v[20:21], v[16:17]
	v_add_f64 v[22:23], v[22:23], v[25:26]
	;; [unrolled: 1-line block ×4, first 2 shown]
	v_add_f64 v[12:13], v[12:13], -v[29:30]
	v_add_f64 v[8:9], v[27:28], -v[33:34]
	v_mul_lo_u16 v25, 0x9c, v47
	v_lshlrev_b32_sdwa v25, v24, v25 dst_sel:DWORD dst_unused:UNUSED_PAD src0_sel:DWORD src1_sel:WORD_0
	v_lshlrev_b32_sdwa v24, v24, v58 dst_sel:DWORD dst_unused:UNUSED_PAD src0_sel:DWORD src1_sel:WORD_0
	v_add3_u32 v24, 0, v24, v25
	ds_write_b128 v24, v[4:7]
	ds_write_b128 v24, v[0:3] offset:1248
	ds_write_b128 v24, v[20:23] offset:416
	;; [unrolled: 1-line block ×5, first 2 shown]
.LBB0_21:
	s_or_b32 exec_lo, exec_lo, s10
	v_mul_u32_u24_e32 v0, 10, v60
	s_waitcnt lgkmcnt(0)
	s_barrier
	buffer_gl0_inv
	s_mov_b32 s16, 0xf8bb580b
	v_lshlrev_b32_e32 v0, 4, v0
	s_mov_b32 s17, 0xbfe14ced
	s_mov_b32 s19, 0xbfed1bb4
	;; [unrolled: 1-line block ×4, first 2 shown]
	v_add_co_u32 v16, s1, s8, v0
	v_add_co_ci_u32_e64 v17, null, s9, 0, s1
	s_mov_b32 s21, 0xbfefac9e
	v_add_co_u32 v0, s1, 0x800, v16
	v_add_co_ci_u32_e64 v1, s1, 0, v17, s1
	v_add_co_u32 v2, s1, 0x970, v16
	v_add_co_ci_u32_e64 v3, s1, 0, v17, s1
	;; [unrolled: 2-line block ×3, first 2 shown]
	s_clause 0x2
	global_load_dwordx4 v[4:7], v[0:1], off offset:240
	global_load_dwordx4 v[8:11], v[2:3], off offset:16
	;; [unrolled: 1-line block ×3, first 2 shown]
	v_add_co_u32 v2, s1, 0x930, v16
	v_add_co_ci_u32_e64 v3, s1, 0, v17, s1
	s_clause 0x6
	global_load_dwordx4 v[16:19], v[0:1], off offset:368
	global_load_dwordx4 v[20:23], v[28:29], off offset:32
	;; [unrolled: 1-line block ×7, first 2 shown]
	ds_read_b128 v[0:3], v160
	ds_read_b128 v[54:57], v160 offset:2496
	ds_read_b128 v[64:67], v160 offset:4992
	;; [unrolled: 1-line block ×10, first 2 shown]
	s_mov_b32 s22, 0xbb3a28a1
	s_mov_b32 s23, 0xbfe82f19
	;; [unrolled: 1-line block ×20, first 2 shown]
	s_waitcnt vmcnt(0) lgkmcnt(0)
	s_barrier
	buffer_gl0_inv
	v_mov_b32_e32 v61, 0
	v_mul_f64 v[28:29], v[56:57], v[6:7]
	v_mul_f64 v[6:7], v[54:55], v[6:7]
	;; [unrolled: 1-line block ×20, first 2 shown]
	v_fma_f64 v[54:55], v[54:55], v[4:5], -v[28:29]
	v_fma_f64 v[56:57], v[56:57], v[4:5], v[6:7]
	v_fma_f64 v[4:5], v[90:91], v[8:9], v[46:47]
	v_fma_f64 v[6:7], v[88:89], v[8:9], -v[10:11]
	v_fma_f64 v[46:47], v[64:65], v[12:13], -v[58:59]
	v_fma_f64 v[58:59], v[66:67], v[12:13], v[14:15]
	v_fma_f64 v[8:9], v[96:97], v[16:17], -v[100:101]
	v_fma_f64 v[10:11], v[98:99], v[16:17], v[18:19]
	v_fma_f64 v[28:29], v[72:73], v[30:31], -v[106:107]
	v_fma_f64 v[16:17], v[84:85], v[34:35], -v[108:109]
	v_fma_f64 v[30:31], v[74:75], v[30:31], v[32:33]
	v_fma_f64 v[18:19], v[86:87], v[34:35], v[36:37]
	v_fma_f64 v[64:65], v[68:69], v[20:21], -v[102:103]
	v_fma_f64 v[66:67], v[70:71], v[20:21], v[22:23]
	v_fma_f64 v[12:13], v[92:93], v[24:25], -v[104:105]
	v_fma_f64 v[14:15], v[94:95], v[24:25], v[26:27]
	v_fma_f64 v[24:25], v[76:77], v[38:39], -v[110:111]
	v_fma_f64 v[26:27], v[78:79], v[38:39], v[40:41]
	v_fma_f64 v[20:21], v[82:83], v[42:43], v[112:113]
	v_fma_f64 v[22:23], v[80:81], v[42:43], -v[44:45]
	v_add_f64 v[32:33], v[0:1], v[54:55]
	v_add_f64 v[34:35], v[2:3], v[56:57]
	v_add_f64 v[36:37], v[56:57], -v[4:5]
	v_add_f64 v[38:39], v[54:55], -v[6:7]
	v_add_f64 v[40:41], v[54:55], v[6:7]
	v_add_f64 v[42:43], v[56:57], v[4:5]
	;; [unrolled: 1-line block ×3, first 2 shown]
	v_add_f64 v[54:55], v[58:59], -v[10:11]
	v_add_f64 v[56:57], v[46:47], -v[8:9]
	v_add_f64 v[68:69], v[58:59], v[10:11]
	v_add_f64 v[80:81], v[28:29], -v[16:17]
	v_add_f64 v[82:83], v[30:31], -v[18:19]
	v_add_f64 v[78:79], v[28:29], v[16:17]
	v_add_f64 v[84:85], v[30:31], v[18:19]
	v_add_f64 v[74:75], v[64:65], -v[12:13]
	v_add_f64 v[76:77], v[66:67], -v[14:15]
	v_add_f64 v[70:71], v[64:65], v[12:13]
	;; [unrolled: 4-line block ×3, first 2 shown]
	v_add_f64 v[92:93], v[26:27], v[20:21]
	v_add_f64 v[32:33], v[32:33], v[46:47]
	;; [unrolled: 1-line block ×3, first 2 shown]
	v_mul_f64 v[46:47], v[36:37], s[16:17]
	v_mul_f64 v[58:59], v[38:39], s[16:17]
	;; [unrolled: 1-line block ×12, first 2 shown]
	s_mov_b32 s19, 0x3fed1bb4
	v_mul_f64 v[110:111], v[54:55], s[22:23]
	v_mul_f64 v[112:113], v[56:57], s[22:23]
	;; [unrolled: 1-line block ×7, first 2 shown]
	v_add_f64 v[32:33], v[32:33], v[64:65]
	v_add_f64 v[34:35], v[34:35], v[66:67]
	v_fma_f64 v[64:65], v[40:41], s[4:5], -v[46:47]
	v_fma_f64 v[66:67], v[42:43], s[4:5], v[58:59]
	v_fma_f64 v[46:47], v[40:41], s[4:5], v[46:47]
	v_fma_f64 v[58:59], v[42:43], s[4:5], -v[58:59]
	v_fma_f64 v[171:172], v[40:41], s[6:7], -v[94:95]
	v_fma_f64 v[173:174], v[42:43], s[6:7], v[96:97]
	v_mul_f64 v[56:57], v[56:57], s[30:31]
	v_mul_f64 v[122:123], v[76:77], s[20:21]
	;; [unrolled: 1-line block ×14, first 2 shown]
	v_add_f64 v[28:29], v[32:33], v[28:29]
	v_add_f64 v[30:31], v[34:35], v[30:31]
	v_mul_f64 v[148:149], v[80:81], s[28:29]
	v_mul_f64 v[150:151], v[80:81], s[16:17]
	;; [unrolled: 1-line block ×17, first 2 shown]
	v_fma_f64 v[94:95], v[40:41], s[6:7], v[94:95]
	v_fma_f64 v[175:176], v[40:41], s[10:11], -v[98:99]
	v_fma_f64 v[177:178], v[42:43], s[10:11], v[100:101]
	v_fma_f64 v[98:99], v[40:41], s[10:11], v[98:99]
	v_fma_f64 v[179:180], v[40:41], s[12:13], -v[102:103]
	v_fma_f64 v[181:182], v[42:43], s[12:13], v[104:105]
	;; [unrolled: 3-line block ×3, first 2 shown]
	v_fma_f64 v[36:37], v[40:41], s[14:15], v[36:37]
	v_fma_f64 v[38:39], v[42:43], s[14:15], -v[38:39]
	v_fma_f64 v[104:105], v[42:43], s[12:13], -v[104:105]
	;; [unrolled: 1-line block ×4, first 2 shown]
	v_add_f64 v[24:25], v[28:29], v[24:25]
	v_add_f64 v[26:27], v[30:31], v[26:27]
	v_fma_f64 v[40:41], v[44:45], s[6:7], -v[106:107]
	v_fma_f64 v[42:43], v[68:69], s[6:7], v[108:109]
	v_add_f64 v[28:29], v[0:1], v[64:65]
	v_add_f64 v[30:31], v[2:3], v[66:67]
	v_fma_f64 v[106:107], v[44:45], s[6:7], v[106:107]
	v_fma_f64 v[108:109], v[68:69], s[6:7], -v[108:109]
	v_fma_f64 v[187:188], v[44:45], s[12:13], -v[110:111]
	v_fma_f64 v[189:190], v[68:69], s[12:13], v[112:113]
	v_add_f64 v[46:47], v[0:1], v[46:47]
	v_add_f64 v[58:59], v[2:3], v[58:59]
	;; [unrolled: 1-line block ×4, first 2 shown]
	v_fma_f64 v[110:111], v[44:45], s[12:13], v[110:111]
	v_fma_f64 v[112:113], v[68:69], s[12:13], -v[112:113]
	v_fma_f64 v[191:192], v[44:45], s[14:15], -v[114:115]
	v_fma_f64 v[193:194], v[68:69], s[14:15], v[116:117]
	v_fma_f64 v[114:115], v[44:45], s[14:15], v[114:115]
	v_fma_f64 v[116:117], v[68:69], s[14:15], -v[116:117]
	v_fma_f64 v[195:196], v[44:45], s[10:11], -v[118:119]
	v_fma_f64 v[197:198], v[68:69], s[10:11], v[120:121]
	;; [unrolled: 4-line block ×8, first 2 shown]
	v_fma_f64 v[217:218], v[78:79], s[10:11], -v[142:143]
	v_fma_f64 v[142:143], v[78:79], s[10:11], v[142:143]
	v_fma_f64 v[219:220], v[78:79], s[4:5], -v[144:145]
	v_fma_f64 v[144:145], v[78:79], s[4:5], v[144:145]
	;; [unrolled: 2-line block ×3, first 2 shown]
	v_fma_f64 v[223:224], v[84:85], s[12:13], v[140:141]
	v_fma_f64 v[140:141], v[84:85], s[12:13], -v[140:141]
	v_fma_f64 v[225:226], v[84:85], s[10:11], v[148:149]
	v_fma_f64 v[148:149], v[84:85], s[10:11], -v[148:149]
	;; [unrolled: 2-line block ×4, first 2 shown]
	v_fma_f64 v[231:232], v[88:89], s[14:15], -v[154:155]
	v_fma_f64 v[154:155], v[88:89], s[14:15], v[154:155]
	v_fma_f64 v[233:234], v[88:89], s[4:5], -v[156:157]
	v_fma_f64 v[156:157], v[88:89], s[4:5], v[156:157]
	v_fma_f64 v[235:236], v[88:89], s[12:13], -v[158:159]
	v_fma_f64 v[158:159], v[88:89], s[12:13], v[158:159]
	v_fma_f64 v[237:238], v[88:89], s[10:11], -v[161:162]
	v_fma_f64 v[161:162], v[88:89], s[10:11], v[161:162]
	v_fma_f64 v[32:33], v[92:93], s[14:15], v[163:164]
	v_fma_f64 v[34:35], v[92:93], s[14:15], -v[163:164]
	v_fma_f64 v[163:164], v[92:93], s[4:5], v[165:166]
	v_fma_f64 v[165:166], v[92:93], s[4:5], -v[165:166]
	v_fma_f64 v[239:240], v[92:93], s[12:13], v[167:168]
	v_fma_f64 v[167:168], v[92:93], s[12:13], -v[167:168]
	v_fma_f64 v[241:242], v[92:93], s[10:11], v[169:170]
	v_fma_f64 v[169:170], v[92:93], s[10:11], -v[169:170]
	v_fma_f64 v[243:244], v[70:71], s[6:7], -v[76:77]
	v_fma_f64 v[70:71], v[70:71], s[6:7], v[76:77]
	v_fma_f64 v[76:77], v[72:73], s[6:7], v[74:75]
	v_fma_f64 v[72:73], v[72:73], s[6:7], -v[74:75]
	v_fma_f64 v[74:75], v[78:79], s[6:7], -v[82:83]
	v_fma_f64 v[78:79], v[78:79], s[6:7], v[82:83]
	v_fma_f64 v[82:83], v[84:85], s[6:7], v[80:81]
	v_fma_f64 v[80:81], v[84:85], s[6:7], -v[80:81]
	;; [unrolled: 4-line block ×3, first 2 shown]
	v_add_f64 v[92:93], v[0:1], v[94:95]
	v_add_f64 v[94:95], v[0:1], v[175:176]
	;; [unrolled: 1-line block ×104, first 2 shown]
	ds_write_b128 v160, v[0:3] offset:2496
	ds_write_b128 v160, v[12:15] offset:4992
	;; [unrolled: 1-line block ×10, first 2 shown]
	ds_write_b128 v160, v[44:47]
	s_waitcnt lgkmcnt(0)
	s_barrier
	buffer_gl0_inv
	ds_read_b128 v[4:7], v160
	v_lshlrev_b32_e32 v0, 4, v60
	s_add_u32 s4, s8, 0x6a70
	s_addc_u32 s5, s9, 0
	s_mov_b32 s6, exec_lo
                                        ; implicit-def: $vgpr2_vgpr3
                                        ; implicit-def: $vgpr8_vgpr9
	v_sub_nc_u32_e32 v10, 0, v0
	v_cmpx_ne_u32_e32 0, v60
	s_xor_b32 s6, exec_lo, s6
	s_cbranch_execz .LBB0_23
; %bb.22:
	v_lshlrev_b64 v[0:1], 4, v[60:61]
	v_add_co_u32 v0, s1, s4, v0
	v_add_co_ci_u32_e64 v1, s1, s5, v1, s1
	global_load_dwordx4 v[11:14], v[0:1], off
	ds_read_b128 v[0:3], v10 offset:27456
	s_waitcnt lgkmcnt(0)
	v_add_f64 v[8:9], v[4:5], -v[0:1]
	v_add_f64 v[15:16], v[6:7], v[2:3]
	v_add_f64 v[2:3], v[6:7], -v[2:3]
	v_add_f64 v[0:1], v[4:5], v[0:1]
	v_mul_f64 v[6:7], v[8:9], 0.5
	v_mul_f64 v[4:5], v[15:16], 0.5
	;; [unrolled: 1-line block ×3, first 2 shown]
	s_waitcnt vmcnt(0)
	v_mul_f64 v[8:9], v[6:7], v[13:14]
	v_fma_f64 v[15:16], v[4:5], v[13:14], v[2:3]
	v_fma_f64 v[2:3], v[4:5], v[13:14], -v[2:3]
	v_fma_f64 v[17:18], v[0:1], 0.5, v[8:9]
	v_fma_f64 v[0:1], v[0:1], 0.5, -v[8:9]
	v_fma_f64 v[8:9], -v[11:12], v[6:7], v[15:16]
	v_fma_f64 v[2:3], -v[11:12], v[6:7], v[2:3]
	v_fma_f64 v[13:14], v[4:5], v[11:12], v[17:18]
	v_fma_f64 v[0:1], -v[4:5], v[11:12], v[0:1]
                                        ; implicit-def: $vgpr4_vgpr5
	ds_write_b64 v160, v[13:14]
.LBB0_23:
	s_andn2_saveexec_b32 s1, s6
	s_cbranch_execz .LBB0_25
; %bb.24:
	v_mov_b32_e32 v15, 0
	s_waitcnt lgkmcnt(0)
	v_add_f64 v[13:14], v[4:5], v[6:7]
	v_add_f64 v[0:1], v[4:5], -v[6:7]
	v_mov_b32_e32 v8, 0
	v_mov_b32_e32 v9, 0
	ds_read_b64 v[11:12], v15 offset:13736
	v_mov_b32_e32 v2, v8
	v_mov_b32_e32 v3, v9
	s_waitcnt lgkmcnt(0)
	v_xor_b32_e32 v12, 0x80000000, v12
	ds_write_b64 v160, v[13:14]
	ds_write_b64 v15, v[11:12] offset:13736
.LBB0_25:
	s_or_b32 exec_lo, exec_lo, s1
	v_mov_b32_e32 v50, 0
	ds_write_b64 v160, v[8:9] offset:8
	ds_write_b128 v10, v[0:3] offset:27456
	s_waitcnt lgkmcnt(2)
	v_lshlrev_b64 v[4:5], 4, v[49:50]
	v_mov_b32_e32 v54, v50
	v_lshlrev_b64 v[11:12], 4, v[53:54]
	v_add_co_u32 v4, s1, s4, v4
	v_add_co_ci_u32_e64 v5, s1, s5, v5, s1
	v_mov_b32_e32 v53, v50
	v_add_co_u32 v11, s1, s4, v11
	global_load_dwordx4 v[4:7], v[4:5], off
	v_add_co_ci_u32_e64 v12, s1, s5, v12, s1
	v_lshlrev_b64 v[8:9], 4, v[52:53]
	v_mov_b32_e32 v52, v50
	global_load_dwordx4 v[11:14], v[11:12], off
	ds_read_b128 v[0:3], v160 offset:2496
	ds_read_b128 v[15:18], v10 offset:24960
	v_add_co_u32 v8, s1, s4, v8
	v_add_co_ci_u32_e64 v9, s1, s5, v9, s1
	global_load_dwordx4 v[19:22], v[8:9], off
	s_waitcnt lgkmcnt(0)
	v_add_f64 v[8:9], v[0:1], -v[15:16]
	v_add_f64 v[23:24], v[2:3], v[17:18]
	v_add_f64 v[2:3], v[2:3], -v[17:18]
	v_add_f64 v[0:1], v[0:1], v[15:16]
	v_mul_f64 v[8:9], v[8:9], 0.5
	v_mul_f64 v[17:18], v[23:24], 0.5
	v_mul_f64 v[2:3], v[2:3], 0.5
	s_waitcnt vmcnt(2)
	v_mul_f64 v[15:16], v[8:9], v[6:7]
	v_fma_f64 v[23:24], v[17:18], v[6:7], v[2:3]
	v_fma_f64 v[6:7], v[17:18], v[6:7], -v[2:3]
	v_fma_f64 v[25:26], v[0:1], 0.5, v[15:16]
	v_fma_f64 v[15:16], v[0:1], 0.5, -v[15:16]
	v_fma_f64 v[2:3], -v[4:5], v[8:9], v[23:24]
	v_fma_f64 v[6:7], -v[4:5], v[8:9], v[6:7]
	v_lshlrev_b64 v[8:9], 4, v[51:52]
	v_add_co_u32 v8, s1, s4, v8
	v_add_co_ci_u32_e64 v9, s1, s5, v9, s1
	v_fma_f64 v[0:1], v[17:18], v[4:5], v[25:26]
	v_fma_f64 v[4:5], -v[17:18], v[4:5], v[15:16]
	ds_write_b128 v160, v[0:3] offset:2496
	ds_write_b128 v10, v[4:7] offset:24960
	ds_read_b128 v[0:3], v160 offset:4992
	ds_read_b128 v[4:7], v10 offset:22464
	global_load_dwordx4 v[15:18], v[8:9], off
	s_waitcnt lgkmcnt(0)
	v_add_f64 v[8:9], v[0:1], -v[4:5]
	v_add_f64 v[23:24], v[2:3], v[6:7]
	v_add_f64 v[2:3], v[2:3], -v[6:7]
	v_add_f64 v[0:1], v[0:1], v[4:5]
	v_mul_f64 v[6:7], v[8:9], 0.5
	v_mul_f64 v[8:9], v[23:24], 0.5
	;; [unrolled: 1-line block ×3, first 2 shown]
	s_waitcnt vmcnt(2)
	v_mul_f64 v[4:5], v[6:7], v[13:14]
	v_fma_f64 v[23:24], v[8:9], v[13:14], v[2:3]
	v_fma_f64 v[13:14], v[8:9], v[13:14], -v[2:3]
	v_fma_f64 v[25:26], v[0:1], 0.5, v[4:5]
	v_fma_f64 v[4:5], v[0:1], 0.5, -v[4:5]
	v_fma_f64 v[2:3], -v[11:12], v[6:7], v[23:24]
	v_fma_f64 v[6:7], -v[11:12], v[6:7], v[13:14]
	v_fma_f64 v[0:1], v[8:9], v[11:12], v[25:26]
	v_fma_f64 v[4:5], -v[8:9], v[11:12], v[4:5]
	ds_write_b128 v160, v[0:3] offset:4992
	ds_write_b128 v10, v[4:7] offset:22464
	ds_read_b128 v[0:3], v160 offset:7488
	ds_read_b128 v[4:7], v10 offset:19968
	s_waitcnt lgkmcnt(0)
	v_add_f64 v[8:9], v[0:1], -v[4:5]
	v_add_f64 v[11:12], v[2:3], v[6:7]
	v_add_f64 v[2:3], v[2:3], -v[6:7]
	v_add_f64 v[0:1], v[0:1], v[4:5]
	v_mul_f64 v[6:7], v[8:9], 0.5
	v_mul_f64 v[8:9], v[11:12], 0.5
	;; [unrolled: 1-line block ×3, first 2 shown]
	s_waitcnt vmcnt(1)
	v_mul_f64 v[4:5], v[6:7], v[21:22]
	v_fma_f64 v[11:12], v[8:9], v[21:22], v[2:3]
	v_fma_f64 v[13:14], v[8:9], v[21:22], -v[2:3]
	v_fma_f64 v[21:22], v[0:1], 0.5, v[4:5]
	v_fma_f64 v[4:5], v[0:1], 0.5, -v[4:5]
	v_fma_f64 v[2:3], -v[19:20], v[6:7], v[11:12]
	v_fma_f64 v[6:7], -v[19:20], v[6:7], v[13:14]
	v_fma_f64 v[0:1], v[8:9], v[19:20], v[21:22]
	v_fma_f64 v[4:5], -v[8:9], v[19:20], v[4:5]
	ds_write_b128 v160, v[0:3] offset:7488
	ds_write_b128 v10, v[4:7] offset:19968
	ds_read_b128 v[0:3], v160 offset:9984
	ds_read_b128 v[4:7], v10 offset:17472
	s_waitcnt lgkmcnt(0)
	v_add_f64 v[8:9], v[0:1], -v[4:5]
	v_add_f64 v[11:12], v[2:3], v[6:7]
	v_add_f64 v[2:3], v[2:3], -v[6:7]
	v_add_f64 v[0:1], v[0:1], v[4:5]
	v_mul_f64 v[6:7], v[8:9], 0.5
	v_mul_f64 v[8:9], v[11:12], 0.5
	;; [unrolled: 1-line block ×3, first 2 shown]
	s_waitcnt vmcnt(0)
	v_mul_f64 v[4:5], v[6:7], v[17:18]
	v_fma_f64 v[11:12], v[8:9], v[17:18], v[2:3]
	v_fma_f64 v[13:14], v[8:9], v[17:18], -v[2:3]
	v_fma_f64 v[17:18], v[0:1], 0.5, v[4:5]
	v_fma_f64 v[4:5], v[0:1], 0.5, -v[4:5]
	v_fma_f64 v[2:3], -v[15:16], v[6:7], v[11:12]
	v_fma_f64 v[6:7], -v[15:16], v[6:7], v[13:14]
	v_fma_f64 v[0:1], v[8:9], v[15:16], v[17:18]
	v_fma_f64 v[4:5], -v[8:9], v[15:16], v[4:5]
	ds_write_b128 v160, v[0:3] offset:9984
	ds_write_b128 v10, v[4:7] offset:17472
	s_and_saveexec_b32 s1, s0
	s_cbranch_execz .LBB0_27
; %bb.26:
	v_mov_b32_e32 v49, v50
	v_lshlrev_b64 v[0:1], 4, v[48:49]
	v_add_co_u32 v0, s0, s4, v0
	v_add_co_ci_u32_e64 v1, s0, s5, v1, s0
	global_load_dwordx4 v[0:3], v[0:1], off
	ds_read_b128 v[4:7], v160 offset:12480
	ds_read_b128 v[11:14], v10 offset:14976
	s_waitcnt lgkmcnt(0)
	v_add_f64 v[8:9], v[4:5], -v[11:12]
	v_add_f64 v[15:16], v[6:7], v[13:14]
	v_add_f64 v[6:7], v[6:7], -v[13:14]
	v_add_f64 v[4:5], v[4:5], v[11:12]
	v_mul_f64 v[8:9], v[8:9], 0.5
	v_mul_f64 v[13:14], v[15:16], 0.5
	;; [unrolled: 1-line block ×3, first 2 shown]
	s_waitcnt vmcnt(0)
	v_mul_f64 v[11:12], v[8:9], v[2:3]
	v_fma_f64 v[15:16], v[13:14], v[2:3], v[6:7]
	v_fma_f64 v[2:3], v[13:14], v[2:3], -v[6:7]
	v_fma_f64 v[6:7], v[4:5], 0.5, v[11:12]
	v_fma_f64 v[11:12], v[4:5], 0.5, -v[11:12]
	v_fma_f64 v[4:5], -v[0:1], v[8:9], v[15:16]
	v_fma_f64 v[8:9], -v[0:1], v[8:9], v[2:3]
	v_fma_f64 v[2:3], v[13:14], v[0:1], v[6:7]
	v_fma_f64 v[6:7], -v[13:14], v[0:1], v[11:12]
	ds_write_b128 v160, v[2:5] offset:12480
	ds_write_b128 v10, v[6:9] offset:14976
.LBB0_27:
	s_or_b32 exec_lo, exec_lo, s1
	s_waitcnt lgkmcnt(0)
	s_barrier
	buffer_gl0_inv
	s_and_saveexec_b32 s0, vcc_lo
	s_cbranch_execz .LBB0_30
; %bb.28:
	v_mov_b32_e32 v61, 0
	ds_read_b128 v[2:5], v160
	ds_read_b128 v[6:9], v160 offset:2496
	ds_read_b128 v[10:13], v160 offset:4992
	v_add_co_u32 v0, vcc_lo, s2, v62
	v_add_co_ci_u32_e32 v1, vcc_lo, s3, v63, vcc_lo
	v_lshlrev_b64 v[14:15], 4, v[60:61]
	v_add_co_u32 v18, vcc_lo, v0, v14
	v_add_co_ci_u32_e32 v19, vcc_lo, v1, v15, vcc_lo
	v_add_co_u32 v14, vcc_lo, 0x800, v18
	v_add_co_ci_u32_e32 v15, vcc_lo, 0, v19, vcc_lo
	;; [unrolled: 2-line block ×3, first 2 shown]
	s_waitcnt lgkmcnt(2)
	global_store_dwordx4 v[18:19], v[2:5], off
	s_waitcnt lgkmcnt(1)
	global_store_dwordx4 v[14:15], v[6:9], off offset:448
	ds_read_b128 v[2:5], v160 offset:7488
	v_add_co_u32 v20, vcc_lo, 0x1800, v18
	s_waitcnt lgkmcnt(1)
	global_store_dwordx4 v[16:17], v[10:13], off offset:896
	ds_read_b128 v[6:9], v160 offset:9984
	ds_read_b128 v[10:13], v160 offset:12480
	;; [unrolled: 1-line block ×3, first 2 shown]
	v_add_co_ci_u32_e32 v21, vcc_lo, 0, v19, vcc_lo
	v_add_co_u32 v22, vcc_lo, 0x2000, v18
	v_add_co_ci_u32_e32 v23, vcc_lo, 0, v19, vcc_lo
	v_add_co_u32 v24, vcc_lo, 0x3000, v18
	;; [unrolled: 2-line block ×3, first 2 shown]
	v_add_co_ci_u32_e32 v27, vcc_lo, 0, v19, vcc_lo
	s_waitcnt lgkmcnt(3)
	global_store_dwordx4 v[20:21], v[2:5], off offset:1344
	s_waitcnt lgkmcnt(2)
	global_store_dwordx4 v[22:23], v[6:9], off offset:1792
	;; [unrolled: 2-line block ×4, first 2 shown]
	ds_read_b128 v[2:5], v160 offset:17472
	ds_read_b128 v[6:9], v160 offset:19968
	;; [unrolled: 1-line block ×4, first 2 shown]
	v_add_co_u32 v20, vcc_lo, 0x4000, v18
	v_add_co_ci_u32_e32 v21, vcc_lo, 0, v19, vcc_lo
	v_add_co_u32 v22, vcc_lo, 0x4800, v18
	v_add_co_ci_u32_e32 v23, vcc_lo, 0, v19, vcc_lo
	;; [unrolled: 2-line block ×4, first 2 shown]
	v_cmp_eq_u32_e32 vcc_lo, 0x9b, v60
	s_waitcnt lgkmcnt(3)
	global_store_dwordx4 v[20:21], v[2:5], off offset:1088
	s_waitcnt lgkmcnt(2)
	global_store_dwordx4 v[22:23], v[6:9], off offset:1536
	;; [unrolled: 2-line block ×4, first 2 shown]
	s_and_b32 exec_lo, exec_lo, vcc_lo
	s_cbranch_execz .LBB0_30
; %bb.29:
	ds_read_b128 v[2:5], v61 offset:27456
	v_add_co_u32 v0, vcc_lo, 0x6800, v0
	v_add_co_ci_u32_e32 v1, vcc_lo, 0, v1, vcc_lo
	s_waitcnt lgkmcnt(0)
	global_store_dwordx4 v[0:1], v[2:5], off offset:832
.LBB0_30:
	s_endpgm
	.section	.rodata,"a",@progbits
	.p2align	6, 0x0
	.amdhsa_kernel fft_rtc_fwd_len1716_factors_13_2_6_11_wgs_156_tpt_156_dp_ip_CI_unitstride_sbrr_R2C_dirReg
		.amdhsa_group_segment_fixed_size 0
		.amdhsa_private_segment_fixed_size 0
		.amdhsa_kernarg_size 88
		.amdhsa_user_sgpr_count 6
		.amdhsa_user_sgpr_private_segment_buffer 1
		.amdhsa_user_sgpr_dispatch_ptr 0
		.amdhsa_user_sgpr_queue_ptr 0
		.amdhsa_user_sgpr_kernarg_segment_ptr 1
		.amdhsa_user_sgpr_dispatch_id 0
		.amdhsa_user_sgpr_flat_scratch_init 0
		.amdhsa_user_sgpr_private_segment_size 0
		.amdhsa_wavefront_size32 1
		.amdhsa_uses_dynamic_stack 0
		.amdhsa_system_sgpr_private_segment_wavefront_offset 0
		.amdhsa_system_sgpr_workgroup_id_x 1
		.amdhsa_system_sgpr_workgroup_id_y 0
		.amdhsa_system_sgpr_workgroup_id_z 0
		.amdhsa_system_sgpr_workgroup_info 0
		.amdhsa_system_vgpr_workitem_id 0
		.amdhsa_next_free_vgpr 245
		.amdhsa_next_free_sgpr 42
		.amdhsa_reserve_vcc 1
		.amdhsa_reserve_flat_scratch 0
		.amdhsa_float_round_mode_32 0
		.amdhsa_float_round_mode_16_64 0
		.amdhsa_float_denorm_mode_32 3
		.amdhsa_float_denorm_mode_16_64 3
		.amdhsa_dx10_clamp 1
		.amdhsa_ieee_mode 1
		.amdhsa_fp16_overflow 0
		.amdhsa_workgroup_processor_mode 1
		.amdhsa_memory_ordered 1
		.amdhsa_forward_progress 0
		.amdhsa_shared_vgpr_count 0
		.amdhsa_exception_fp_ieee_invalid_op 0
		.amdhsa_exception_fp_denorm_src 0
		.amdhsa_exception_fp_ieee_div_zero 0
		.amdhsa_exception_fp_ieee_overflow 0
		.amdhsa_exception_fp_ieee_underflow 0
		.amdhsa_exception_fp_ieee_inexact 0
		.amdhsa_exception_int_div_zero 0
	.end_amdhsa_kernel
	.text
.Lfunc_end0:
	.size	fft_rtc_fwd_len1716_factors_13_2_6_11_wgs_156_tpt_156_dp_ip_CI_unitstride_sbrr_R2C_dirReg, .Lfunc_end0-fft_rtc_fwd_len1716_factors_13_2_6_11_wgs_156_tpt_156_dp_ip_CI_unitstride_sbrr_R2C_dirReg
                                        ; -- End function
	.section	.AMDGPU.csdata,"",@progbits
; Kernel info:
; codeLenInByte = 13508
; NumSgprs: 44
; NumVgprs: 245
; ScratchSize: 0
; MemoryBound: 0
; FloatMode: 240
; IeeeMode: 1
; LDSByteSize: 0 bytes/workgroup (compile time only)
; SGPRBlocks: 5
; VGPRBlocks: 30
; NumSGPRsForWavesPerEU: 44
; NumVGPRsForWavesPerEU: 245
; Occupancy: 4
; WaveLimiterHint : 1
; COMPUTE_PGM_RSRC2:SCRATCH_EN: 0
; COMPUTE_PGM_RSRC2:USER_SGPR: 6
; COMPUTE_PGM_RSRC2:TRAP_HANDLER: 0
; COMPUTE_PGM_RSRC2:TGID_X_EN: 1
; COMPUTE_PGM_RSRC2:TGID_Y_EN: 0
; COMPUTE_PGM_RSRC2:TGID_Z_EN: 0
; COMPUTE_PGM_RSRC2:TIDIG_COMP_CNT: 0
	.text
	.p2alignl 6, 3214868480
	.fill 48, 4, 3214868480
	.type	__hip_cuid_ebfd11eaf226967f,@object ; @__hip_cuid_ebfd11eaf226967f
	.section	.bss,"aw",@nobits
	.globl	__hip_cuid_ebfd11eaf226967f
__hip_cuid_ebfd11eaf226967f:
	.byte	0                               ; 0x0
	.size	__hip_cuid_ebfd11eaf226967f, 1

	.ident	"AMD clang version 19.0.0git (https://github.com/RadeonOpenCompute/llvm-project roc-6.4.0 25133 c7fe45cf4b819c5991fe208aaa96edf142730f1d)"
	.section	".note.GNU-stack","",@progbits
	.addrsig
	.addrsig_sym __hip_cuid_ebfd11eaf226967f
	.amdgpu_metadata
---
amdhsa.kernels:
  - .args:
      - .actual_access:  read_only
        .address_space:  global
        .offset:         0
        .size:           8
        .value_kind:     global_buffer
      - .offset:         8
        .size:           8
        .value_kind:     by_value
      - .actual_access:  read_only
        .address_space:  global
        .offset:         16
        .size:           8
        .value_kind:     global_buffer
      - .actual_access:  read_only
        .address_space:  global
        .offset:         24
        .size:           8
        .value_kind:     global_buffer
      - .offset:         32
        .size:           8
        .value_kind:     by_value
      - .actual_access:  read_only
        .address_space:  global
        .offset:         40
        .size:           8
        .value_kind:     global_buffer
      - .actual_access:  read_only
        .address_space:  global
        .offset:         48
        .size:           8
        .value_kind:     global_buffer
      - .offset:         56
        .size:           4
        .value_kind:     by_value
      - .actual_access:  read_only
        .address_space:  global
        .offset:         64
        .size:           8
        .value_kind:     global_buffer
      - .actual_access:  read_only
        .address_space:  global
        .offset:         72
        .size:           8
        .value_kind:     global_buffer
      - .address_space:  global
        .offset:         80
        .size:           8
        .value_kind:     global_buffer
    .group_segment_fixed_size: 0
    .kernarg_segment_align: 8
    .kernarg_segment_size: 88
    .language:       OpenCL C
    .language_version:
      - 2
      - 0
    .max_flat_workgroup_size: 156
    .name:           fft_rtc_fwd_len1716_factors_13_2_6_11_wgs_156_tpt_156_dp_ip_CI_unitstride_sbrr_R2C_dirReg
    .private_segment_fixed_size: 0
    .sgpr_count:     44
    .sgpr_spill_count: 0
    .symbol:         fft_rtc_fwd_len1716_factors_13_2_6_11_wgs_156_tpt_156_dp_ip_CI_unitstride_sbrr_R2C_dirReg.kd
    .uniform_work_group_size: 1
    .uses_dynamic_stack: false
    .vgpr_count:     245
    .vgpr_spill_count: 0
    .wavefront_size: 32
    .workgroup_processor_mode: 1
amdhsa.target:   amdgcn-amd-amdhsa--gfx1030
amdhsa.version:
  - 1
  - 2
...

	.end_amdgpu_metadata
